;; amdgpu-corpus repo=ROCm/rocFFT kind=compiled arch=gfx1100 opt=O3
	.text
	.amdgcn_target "amdgcn-amd-amdhsa--gfx1100"
	.amdhsa_code_object_version 6
	.protected	fft_rtc_back_len1664_factors_13_2_2_4_2_2_2_wgs_208_tpt_208_halfLds_dp_op_CI_CI_sbrr_dirReg ; -- Begin function fft_rtc_back_len1664_factors_13_2_2_4_2_2_2_wgs_208_tpt_208_halfLds_dp_op_CI_CI_sbrr_dirReg
	.globl	fft_rtc_back_len1664_factors_13_2_2_4_2_2_2_wgs_208_tpt_208_halfLds_dp_op_CI_CI_sbrr_dirReg
	.p2align	8
	.type	fft_rtc_back_len1664_factors_13_2_2_4_2_2_2_wgs_208_tpt_208_halfLds_dp_op_CI_CI_sbrr_dirReg,@function
fft_rtc_back_len1664_factors_13_2_2_4_2_2_2_wgs_208_tpt_208_halfLds_dp_op_CI_CI_sbrr_dirReg: ; @fft_rtc_back_len1664_factors_13_2_2_4_2_2_2_wgs_208_tpt_208_halfLds_dp_op_CI_CI_sbrr_dirReg
; %bb.0:
	s_clause 0x2
	s_load_b128 s[16:19], s[0:1], 0x18
	s_load_b128 s[8:11], s[0:1], 0x0
	;; [unrolled: 1-line block ×3, first 2 shown]
	v_mul_u32_u24_e32 v1, 0x13c, v0
	v_mov_b32_e32 v4, 0
	v_mov_b32_e32 v5, 0
	s_waitcnt lgkmcnt(0)
	s_load_b64 s[20:21], s[16:17], 0x0
	s_load_b64 s[12:13], s[18:19], 0x0
	v_lshrrev_b32_e32 v2, 16, v1
	v_mov_b32_e32 v1, 0
	v_cmp_lt_u64_e64 s2, s[10:11], 2
	s_delay_alu instid0(VALU_DEP_2) | instskip(NEXT) | instid1(VALU_DEP_2)
	v_dual_mov_b32 v7, v1 :: v_dual_add_nc_u32 v6, s15, v2
	s_and_b32 vcc_lo, exec_lo, s2
	s_cbranch_vccnz .LBB0_8
; %bb.1:
	s_load_b64 s[2:3], s[0:1], 0x10
	v_mov_b32_e32 v4, 0
	v_mov_b32_e32 v5, 0
	s_add_u32 s14, s18, 8
	s_addc_u32 s15, s19, 0
	s_add_u32 s22, s16, 8
	s_addc_u32 s23, s17, 0
	v_dual_mov_b32 v69, v5 :: v_dual_mov_b32 v68, v4
	s_mov_b64 s[26:27], 1
	s_waitcnt lgkmcnt(0)
	s_add_u32 s24, s2, 8
	s_addc_u32 s25, s3, 0
.LBB0_2:                                ; =>This Inner Loop Header: Depth=1
	s_load_b64 s[28:29], s[24:25], 0x0
                                        ; implicit-def: $vgpr72_vgpr73
	s_mov_b32 s2, exec_lo
	s_waitcnt lgkmcnt(0)
	v_or_b32_e32 v2, s29, v7
	s_delay_alu instid0(VALU_DEP_1)
	v_cmpx_ne_u64_e32 0, v[1:2]
	s_xor_b32 s3, exec_lo, s2
	s_cbranch_execz .LBB0_4
; %bb.3:                                ;   in Loop: Header=BB0_2 Depth=1
	v_cvt_f32_u32_e32 v2, s28
	v_cvt_f32_u32_e32 v3, s29
	s_sub_u32 s2, 0, s28
	s_subb_u32 s30, 0, s29
	s_delay_alu instid0(VALU_DEP_1) | instskip(NEXT) | instid1(VALU_DEP_1)
	v_fmac_f32_e32 v2, 0x4f800000, v3
	v_rcp_f32_e32 v2, v2
	s_waitcnt_depctr 0xfff
	v_mul_f32_e32 v2, 0x5f7ffffc, v2
	s_delay_alu instid0(VALU_DEP_1) | instskip(NEXT) | instid1(VALU_DEP_1)
	v_mul_f32_e32 v3, 0x2f800000, v2
	v_trunc_f32_e32 v3, v3
	s_delay_alu instid0(VALU_DEP_1) | instskip(SKIP_1) | instid1(VALU_DEP_2)
	v_fmac_f32_e32 v2, 0xcf800000, v3
	v_cvt_u32_f32_e32 v3, v3
	v_cvt_u32_f32_e32 v2, v2
	s_delay_alu instid0(VALU_DEP_2) | instskip(NEXT) | instid1(VALU_DEP_2)
	v_mul_lo_u32 v8, s2, v3
	v_mul_hi_u32 v9, s2, v2
	v_mul_lo_u32 v10, s30, v2
	s_delay_alu instid0(VALU_DEP_2) | instskip(SKIP_1) | instid1(VALU_DEP_2)
	v_add_nc_u32_e32 v8, v9, v8
	v_mul_lo_u32 v9, s2, v2
	v_add_nc_u32_e32 v8, v8, v10
	s_delay_alu instid0(VALU_DEP_2) | instskip(NEXT) | instid1(VALU_DEP_2)
	v_mul_hi_u32 v10, v2, v9
	v_mul_lo_u32 v11, v2, v8
	v_mul_hi_u32 v12, v2, v8
	v_mul_hi_u32 v13, v3, v9
	v_mul_lo_u32 v9, v3, v9
	v_mul_hi_u32 v14, v3, v8
	v_mul_lo_u32 v8, v3, v8
	v_add_co_u32 v10, vcc_lo, v10, v11
	v_add_co_ci_u32_e32 v11, vcc_lo, 0, v12, vcc_lo
	s_delay_alu instid0(VALU_DEP_2) | instskip(NEXT) | instid1(VALU_DEP_2)
	v_add_co_u32 v9, vcc_lo, v10, v9
	v_add_co_ci_u32_e32 v9, vcc_lo, v11, v13, vcc_lo
	v_add_co_ci_u32_e32 v10, vcc_lo, 0, v14, vcc_lo
	s_delay_alu instid0(VALU_DEP_2) | instskip(NEXT) | instid1(VALU_DEP_2)
	v_add_co_u32 v8, vcc_lo, v9, v8
	v_add_co_ci_u32_e32 v9, vcc_lo, 0, v10, vcc_lo
	s_delay_alu instid0(VALU_DEP_2) | instskip(NEXT) | instid1(VALU_DEP_2)
	v_add_co_u32 v2, vcc_lo, v2, v8
	v_add_co_ci_u32_e32 v3, vcc_lo, v3, v9, vcc_lo
	s_delay_alu instid0(VALU_DEP_2) | instskip(SKIP_1) | instid1(VALU_DEP_3)
	v_mul_hi_u32 v8, s2, v2
	v_mul_lo_u32 v10, s30, v2
	v_mul_lo_u32 v9, s2, v3
	s_delay_alu instid0(VALU_DEP_1) | instskip(SKIP_1) | instid1(VALU_DEP_2)
	v_add_nc_u32_e32 v8, v8, v9
	v_mul_lo_u32 v9, s2, v2
	v_add_nc_u32_e32 v8, v8, v10
	s_delay_alu instid0(VALU_DEP_2) | instskip(NEXT) | instid1(VALU_DEP_2)
	v_mul_hi_u32 v10, v2, v9
	v_mul_lo_u32 v11, v2, v8
	v_mul_hi_u32 v12, v2, v8
	v_mul_hi_u32 v13, v3, v9
	v_mul_lo_u32 v9, v3, v9
	v_mul_hi_u32 v14, v3, v8
	v_mul_lo_u32 v8, v3, v8
	v_add_co_u32 v10, vcc_lo, v10, v11
	v_add_co_ci_u32_e32 v11, vcc_lo, 0, v12, vcc_lo
	s_delay_alu instid0(VALU_DEP_2) | instskip(NEXT) | instid1(VALU_DEP_2)
	v_add_co_u32 v9, vcc_lo, v10, v9
	v_add_co_ci_u32_e32 v9, vcc_lo, v11, v13, vcc_lo
	v_add_co_ci_u32_e32 v10, vcc_lo, 0, v14, vcc_lo
	s_delay_alu instid0(VALU_DEP_2) | instskip(NEXT) | instid1(VALU_DEP_2)
	v_add_co_u32 v8, vcc_lo, v9, v8
	v_add_co_ci_u32_e32 v9, vcc_lo, 0, v10, vcc_lo
	s_delay_alu instid0(VALU_DEP_2) | instskip(NEXT) | instid1(VALU_DEP_2)
	v_add_co_u32 v10, vcc_lo, v2, v8
	v_add_co_ci_u32_e32 v12, vcc_lo, v3, v9, vcc_lo
	s_delay_alu instid0(VALU_DEP_2) | instskip(SKIP_1) | instid1(VALU_DEP_3)
	v_mul_hi_u32 v13, v6, v10
	v_mad_u64_u32 v[8:9], null, v7, v10, 0
	v_mad_u64_u32 v[2:3], null, v6, v12, 0
	;; [unrolled: 1-line block ×3, first 2 shown]
	s_delay_alu instid0(VALU_DEP_2) | instskip(NEXT) | instid1(VALU_DEP_3)
	v_add_co_u32 v2, vcc_lo, v13, v2
	v_add_co_ci_u32_e32 v3, vcc_lo, 0, v3, vcc_lo
	s_delay_alu instid0(VALU_DEP_2) | instskip(NEXT) | instid1(VALU_DEP_2)
	v_add_co_u32 v2, vcc_lo, v2, v8
	v_add_co_ci_u32_e32 v2, vcc_lo, v3, v9, vcc_lo
	v_add_co_ci_u32_e32 v3, vcc_lo, 0, v11, vcc_lo
	s_delay_alu instid0(VALU_DEP_2) | instskip(NEXT) | instid1(VALU_DEP_2)
	v_add_co_u32 v8, vcc_lo, v2, v10
	v_add_co_ci_u32_e32 v9, vcc_lo, 0, v3, vcc_lo
	s_delay_alu instid0(VALU_DEP_2) | instskip(SKIP_1) | instid1(VALU_DEP_3)
	v_mul_lo_u32 v10, s29, v8
	v_mad_u64_u32 v[2:3], null, s28, v8, 0
	v_mul_lo_u32 v11, s28, v9
	s_delay_alu instid0(VALU_DEP_2) | instskip(NEXT) | instid1(VALU_DEP_2)
	v_sub_co_u32 v2, vcc_lo, v6, v2
	v_add3_u32 v3, v3, v11, v10
	s_delay_alu instid0(VALU_DEP_1) | instskip(NEXT) | instid1(VALU_DEP_1)
	v_sub_nc_u32_e32 v10, v7, v3
	v_subrev_co_ci_u32_e64 v10, s2, s29, v10, vcc_lo
	v_add_co_u32 v11, s2, v8, 2
	s_delay_alu instid0(VALU_DEP_1) | instskip(SKIP_3) | instid1(VALU_DEP_3)
	v_add_co_ci_u32_e64 v12, s2, 0, v9, s2
	v_sub_co_u32 v13, s2, v2, s28
	v_sub_co_ci_u32_e32 v3, vcc_lo, v7, v3, vcc_lo
	v_subrev_co_ci_u32_e64 v10, s2, 0, v10, s2
	v_cmp_le_u32_e32 vcc_lo, s28, v13
	s_delay_alu instid0(VALU_DEP_3) | instskip(SKIP_1) | instid1(VALU_DEP_4)
	v_cmp_eq_u32_e64 s2, s29, v3
	v_cndmask_b32_e64 v13, 0, -1, vcc_lo
	v_cmp_le_u32_e32 vcc_lo, s29, v10
	v_cndmask_b32_e64 v14, 0, -1, vcc_lo
	v_cmp_le_u32_e32 vcc_lo, s28, v2
	;; [unrolled: 2-line block ×3, first 2 shown]
	v_cndmask_b32_e64 v15, 0, -1, vcc_lo
	v_cmp_eq_u32_e32 vcc_lo, s29, v10
	s_delay_alu instid0(VALU_DEP_2) | instskip(SKIP_3) | instid1(VALU_DEP_3)
	v_cndmask_b32_e64 v2, v15, v2, s2
	v_cndmask_b32_e32 v10, v14, v13, vcc_lo
	v_add_co_u32 v13, vcc_lo, v8, 1
	v_add_co_ci_u32_e32 v14, vcc_lo, 0, v9, vcc_lo
	v_cmp_ne_u32_e32 vcc_lo, 0, v10
	s_delay_alu instid0(VALU_DEP_2) | instskip(SKIP_1) | instid1(VALU_DEP_2)
	v_dual_cndmask_b32 v3, v14, v12 :: v_dual_cndmask_b32 v10, v13, v11
	v_cmp_ne_u32_e32 vcc_lo, 0, v2
	v_dual_cndmask_b32 v73, v9, v3 :: v_dual_cndmask_b32 v72, v8, v10
.LBB0_4:                                ;   in Loop: Header=BB0_2 Depth=1
	s_and_not1_saveexec_b32 s2, s3
	s_cbranch_execz .LBB0_6
; %bb.5:                                ;   in Loop: Header=BB0_2 Depth=1
	v_cvt_f32_u32_e32 v2, s28
	s_sub_i32 s3, 0, s28
	v_mov_b32_e32 v73, v1
	s_delay_alu instid0(VALU_DEP_2) | instskip(SKIP_2) | instid1(VALU_DEP_1)
	v_rcp_iflag_f32_e32 v2, v2
	s_waitcnt_depctr 0xfff
	v_mul_f32_e32 v2, 0x4f7ffffe, v2
	v_cvt_u32_f32_e32 v2, v2
	s_delay_alu instid0(VALU_DEP_1) | instskip(NEXT) | instid1(VALU_DEP_1)
	v_mul_lo_u32 v3, s3, v2
	v_mul_hi_u32 v3, v2, v3
	s_delay_alu instid0(VALU_DEP_1) | instskip(NEXT) | instid1(VALU_DEP_1)
	v_add_nc_u32_e32 v2, v2, v3
	v_mul_hi_u32 v2, v6, v2
	s_delay_alu instid0(VALU_DEP_1) | instskip(SKIP_1) | instid1(VALU_DEP_2)
	v_mul_lo_u32 v3, v2, s28
	v_add_nc_u32_e32 v8, 1, v2
	v_sub_nc_u32_e32 v3, v6, v3
	s_delay_alu instid0(VALU_DEP_1) | instskip(SKIP_1) | instid1(VALU_DEP_2)
	v_subrev_nc_u32_e32 v9, s28, v3
	v_cmp_le_u32_e32 vcc_lo, s28, v3
	v_dual_cndmask_b32 v3, v3, v9 :: v_dual_cndmask_b32 v2, v2, v8
	s_delay_alu instid0(VALU_DEP_1) | instskip(NEXT) | instid1(VALU_DEP_2)
	v_cmp_le_u32_e32 vcc_lo, s28, v3
	v_add_nc_u32_e32 v8, 1, v2
	s_delay_alu instid0(VALU_DEP_1)
	v_cndmask_b32_e32 v72, v2, v8, vcc_lo
.LBB0_6:                                ;   in Loop: Header=BB0_2 Depth=1
	s_or_b32 exec_lo, exec_lo, s2
	s_delay_alu instid0(VALU_DEP_1) | instskip(NEXT) | instid1(VALU_DEP_2)
	v_mul_lo_u32 v8, v73, s28
	v_mul_lo_u32 v9, v72, s29
	s_load_b64 s[2:3], s[22:23], 0x0
	v_mad_u64_u32 v[2:3], null, v72, s28, 0
	s_load_b64 s[28:29], s[14:15], 0x0
	s_add_u32 s26, s26, 1
	s_addc_u32 s27, s27, 0
	s_add_u32 s14, s14, 8
	s_addc_u32 s15, s15, 0
	s_add_u32 s22, s22, 8
	s_delay_alu instid0(VALU_DEP_1) | instskip(SKIP_3) | instid1(VALU_DEP_2)
	v_add3_u32 v3, v3, v9, v8
	v_sub_co_u32 v8, vcc_lo, v6, v2
	s_addc_u32 s23, s23, 0
	s_add_u32 s24, s24, 8
	v_sub_co_ci_u32_e32 v6, vcc_lo, v7, v3, vcc_lo
	s_addc_u32 s25, s25, 0
	s_waitcnt lgkmcnt(0)
	s_delay_alu instid0(VALU_DEP_1)
	v_mul_lo_u32 v9, s2, v6
	v_mul_lo_u32 v10, s3, v8
	v_mad_u64_u32 v[2:3], null, s2, v8, v[4:5]
	v_mul_lo_u32 v11, s28, v6
	v_mul_lo_u32 v12, s29, v8
	v_mad_u64_u32 v[6:7], null, s28, v8, v[68:69]
	v_cmp_ge_u64_e64 s2, s[26:27], s[10:11]
	v_add3_u32 v5, v10, v3, v9
	v_mov_b32_e32 v4, v2
	s_delay_alu instid0(VALU_DEP_4)
	v_add3_u32 v69, v12, v7, v11
	v_mov_b32_e32 v68, v6
	s_and_b32 vcc_lo, exec_lo, s2
	s_cbranch_vccnz .LBB0_9
; %bb.7:                                ;   in Loop: Header=BB0_2 Depth=1
	v_dual_mov_b32 v6, v72 :: v_dual_mov_b32 v7, v73
	s_branch .LBB0_2
.LBB0_8:
	v_dual_mov_b32 v69, v5 :: v_dual_mov_b32 v68, v4
	s_delay_alu instid0(VALU_DEP_2)
	v_dual_mov_b32 v73, v7 :: v_dual_mov_b32 v72, v6
.LBB0_9:
	s_load_b64 s[0:1], s[0:1], 0x28
	v_mul_hi_u32 v1, 0x13b13b2, v0
	s_lshl_b64 s[10:11], s[10:11], 3
                                        ; implicit-def: $vgpr38_vgpr39
                                        ; implicit-def: $vgpr46_vgpr47
                                        ; implicit-def: $vgpr14_vgpr15
                                        ; implicit-def: $vgpr22_vgpr23
                                        ; implicit-def: $vgpr2_vgpr3
                                        ; implicit-def: $vgpr10_vgpr11
                                        ; implicit-def: $vgpr18_vgpr19
                                        ; implicit-def: $vgpr30_vgpr31
                                        ; implicit-def: $vgpr50_vgpr51
                                        ; implicit-def: $vgpr26_vgpr27
                                        ; implicit-def: $vgpr34_vgpr35
                                        ; implicit-def: $vgpr42_vgpr43
                                        ; implicit-def: $vgpr6_vgpr7
	s_delay_alu instid0(SALU_CYCLE_1) | instskip(SKIP_1) | instid1(VALU_DEP_1)
	s_add_u32 s2, s18, s10
	s_addc_u32 s3, s19, s11
	v_mul_u32_u24_e32 v1, 0xd0, v1
	s_delay_alu instid0(VALU_DEP_1) | instskip(SKIP_2) | instid1(VALU_DEP_2)
	v_sub_nc_u32_e32 v70, v0, v1
	s_waitcnt lgkmcnt(0)
	v_cmp_gt_u64_e32 vcc_lo, s[0:1], v[72:73]
	v_cmp_gt_u32_e64 s0, 0x80, v70
	s_delay_alu instid0(VALU_DEP_1) | instskip(NEXT) | instid1(SALU_CYCLE_1)
	s_and_b32 s1, vcc_lo, s0
	s_and_saveexec_b32 s14, s1
	s_cbranch_execz .LBB0_11
; %bb.10:
	s_add_u32 s10, s16, s10
	s_addc_u32 s11, s17, s11
	v_or_b32_e32 v14, 0x80, v70
	s_load_b64 s[10:11], s[10:11], 0x0
	v_mad_u64_u32 v[0:1], null, s20, v70, 0
	v_lshlrev_b64 v[4:5], 4, v[4:5]
	s_delay_alu instid0(VALU_DEP_3)
	v_mad_u64_u32 v[2:3], null, s20, v14, 0
	v_or_b32_e32 v15, 0x100, v70
	v_or_b32_e32 v16, 0x180, v70
	;; [unrolled: 1-line block ×5, first 2 shown]
	v_mad_u64_u32 v[8:9], null, s20, v15, 0
	v_mad_u64_u32 v[12:13], null, s21, v70, v[1:2]
	;; [unrolled: 1-line block ×4, first 2 shown]
	v_or_b32_e32 v21, 0x500, v70
	s_waitcnt lgkmcnt(0)
	v_mul_lo_u32 v17, s11, v72
	v_mul_lo_u32 v18, s10, v73
	v_mad_u64_u32 v[6:7], null, s10, v72, 0
	v_mov_b32_e32 v1, v12
	v_mad_u64_u32 v[12:13], null, s21, v14, v[3:4]
	v_mad_u64_u32 v[13:14], null, s21, v15, v[9:10]
	s_delay_alu instid0(VALU_DEP_3)
	v_lshlrev_b64 v[0:1], 4, v[0:1]
	v_add3_u32 v7, v7, v18, v17
	v_or_b32_e32 v17, 0x300, v70
	v_or_b32_e32 v18, 0x380, v70
	v_mov_b32_e32 v3, v12
	v_mad_u64_u32 v[14:15], null, s21, v16, v[11:12]
	v_lshlrev_b64 v[6:7], 4, v[6:7]
	v_mad_u64_u32 v[15:16], null, s20, v19, 0
	s_delay_alu instid0(VALU_DEP_4) | instskip(SKIP_3) | instid1(VALU_DEP_1)
	v_lshlrev_b64 v[2:3], 4, v[2:3]
	v_mov_b32_e32 v9, v13
	v_or_b32_e32 v53, 0x600, v70
	v_add_co_u32 v6, s1, s4, v6
	v_add_co_ci_u32_e64 v7, s1, s5, v7, s1
	s_delay_alu instid0(VALU_DEP_2) | instskip(NEXT) | instid1(VALU_DEP_1)
	v_add_co_u32 v50, s1, v6, v4
	v_add_co_ci_u32_e64 v51, s1, v7, v5, s1
	s_delay_alu instid0(VALU_DEP_2) | instskip(NEXT) | instid1(VALU_DEP_1)
	v_add_co_u32 v0, s1, v50, v0
	v_add_co_ci_u32_e64 v1, s1, v51, v1, s1
	v_add_co_u32 v2, s1, v50, v2
	s_delay_alu instid0(VALU_DEP_1)
	v_add_co_ci_u32_e64 v3, s1, v51, v3, s1
	s_clause 0x1
	global_load_b128 v[4:7], v[0:1], off
	global_load_b128 v[36:39], v[2:3], off
	v_mov_b32_e32 v2, v16
	v_or_b32_e32 v3, 0x280, v70
	v_lshlrev_b64 v[0:1], 4, v[8:9]
	s_delay_alu instid0(VALU_DEP_2) | instskip(SKIP_2) | instid1(VALU_DEP_4)
	v_mad_u64_u32 v[12:13], null, s21, v19, v[2:3]
	v_mov_b32_e32 v11, v14
	v_mad_u64_u32 v[8:9], null, s20, v3, 0
	v_add_co_u32 v0, s1, v50, v0
	s_delay_alu instid0(VALU_DEP_1) | instskip(SKIP_4) | instid1(VALU_DEP_3)
	v_add_co_ci_u32_e64 v1, s1, v51, v1, s1
	v_mov_b32_e32 v16, v12
	v_lshlrev_b64 v[10:11], 4, v[10:11]
	v_mov_b32_e32 v2, v9
	v_mad_u64_u32 v[13:14], null, s20, v17, 0
	v_add_co_u32 v9, s1, v50, v10
	s_delay_alu instid0(VALU_DEP_1) | instskip(NEXT) | instid1(VALU_DEP_4)
	v_add_co_ci_u32_e64 v10, s1, v51, v11, s1
	v_mad_u64_u32 v[11:12], null, s21, v3, v[2:3]
	v_mad_u64_u32 v[2:3], null, s20, v18, 0
	s_clause 0x1
	global_load_b128 v[44:47], v[0:1], off
	global_load_b128 v[40:43], v[9:10], off
	v_mov_b32_e32 v12, v14
	v_lshlrev_b64 v[0:1], 4, v[15:16]
	v_mov_b32_e32 v9, v11
	s_delay_alu instid0(VALU_DEP_3) | instskip(NEXT) | instid1(VALU_DEP_3)
	v_mad_u64_u32 v[14:15], null, s21, v17, v[12:13]
	v_add_co_u32 v0, s1, v50, v0
	s_delay_alu instid0(VALU_DEP_3) | instskip(SKIP_1) | instid1(VALU_DEP_4)
	v_lshlrev_b64 v[8:9], 4, v[8:9]
	v_add_co_ci_u32_e64 v1, s1, v51, v1, s1
	v_lshlrev_b64 v[16:17], 4, v[13:14]
	s_delay_alu instid0(VALU_DEP_3) | instskip(NEXT) | instid1(VALU_DEP_1)
	v_add_co_u32 v8, s1, v50, v8
	v_add_co_ci_u32_e64 v9, s1, v51, v9, s1
	s_clause 0x1
	global_load_b128 v[32:35], v[0:1], off
	global_load_b128 v[12:15], v[8:9], off
	v_add_co_u32 v0, s1, v50, v16
	s_delay_alu instid0(VALU_DEP_1) | instskip(SKIP_4) | instid1(VALU_DEP_1)
	v_add_co_ci_u32_e64 v1, s1, v51, v17, s1
	v_mad_u64_u32 v[16:17], null, s20, v21, 0
	s_waitcnt vmcnt(5)
	v_mad_u64_u32 v[10:11], null, s21, v18, v[3:4]
	v_or_b32_e32 v11, 0x400, v70
	v_mad_u64_u32 v[18:19], null, s20, v11, 0
	s_delay_alu instid0(VALU_DEP_1) | instskip(NEXT) | instid1(VALU_DEP_1)
	v_dual_mov_b32 v3, v10 :: v_dual_mov_b32 v8, v19
	v_lshlrev_b64 v[2:3], 4, v[2:3]
	s_delay_alu instid0(VALU_DEP_2) | instskip(SKIP_1) | instid1(VALU_DEP_3)
	v_mad_u64_u32 v[9:10], null, s21, v11, v[8:9]
	v_mad_u64_u32 v[10:11], null, s20, v20, 0
	v_add_co_u32 v2, s1, v50, v2
	s_delay_alu instid0(VALU_DEP_1) | instskip(NEXT) | instid1(VALU_DEP_4)
	v_add_co_ci_u32_e64 v3, s1, v51, v3, s1
	v_mov_b32_e32 v19, v9
	s_delay_alu instid0(VALU_DEP_4) | instskip(NEXT) | instid1(VALU_DEP_1)
	v_dual_mov_b32 v9, v17 :: v_dual_mov_b32 v8, v11
	v_mad_u64_u32 v[48:49], null, s21, v21, v[9:10]
	s_delay_alu instid0(VALU_DEP_2)
	v_mad_u64_u32 v[30:31], null, s21, v20, v[8:9]
	v_mad_u64_u32 v[8:9], null, s20, v53, 0
	s_clause 0x1
	global_load_b128 v[20:23], v[0:1], off
	global_load_b128 v[24:27], v[2:3], off
	v_lshlrev_b64 v[1:2], 4, v[18:19]
	v_dual_mov_b32 v0, v29 :: v_dual_mov_b32 v17, v48
	v_mov_b32_e32 v11, v30
	s_delay_alu instid0(VALU_DEP_2) | instskip(SKIP_2) | instid1(VALU_DEP_4)
	v_mad_u64_u32 v[18:19], null, s21, v52, v[0:1]
	v_mov_b32_e32 v0, v9
	v_add_co_u32 v1, s1, v50, v1
	v_lshlrev_b64 v[9:10], 4, v[10:11]
	v_add_co_ci_u32_e64 v2, s1, v51, v2, s1
	s_delay_alu instid0(VALU_DEP_3) | instskip(SKIP_3) | instid1(VALU_DEP_1)
	v_mad_u64_u32 v[30:31], null, s21, v53, v[0:1]
	v_mov_b32_e32 v29, v18
	v_lshlrev_b64 v[16:17], 4, v[16:17]
	v_add_co_u32 v18, s1, v50, v9
	v_add_co_ci_u32_e64 v19, s1, v51, v10, s1
	v_mov_b32_e32 v9, v30
	v_lshlrev_b64 v[10:11], 4, v[28:29]
	v_add_co_u32 v16, s1, v50, v16
	s_delay_alu instid0(VALU_DEP_1) | instskip(NEXT) | instid1(VALU_DEP_4)
	v_add_co_ci_u32_e64 v17, s1, v51, v17, s1
	v_lshlrev_b64 v[8:9], 4, v[8:9]
	s_delay_alu instid0(VALU_DEP_4) | instskip(NEXT) | instid1(VALU_DEP_1)
	v_add_co_u32 v10, s1, v50, v10
	v_add_co_ci_u32_e64 v11, s1, v51, v11, s1
	s_delay_alu instid0(VALU_DEP_3) | instskip(NEXT) | instid1(VALU_DEP_1)
	v_add_co_u32 v52, s1, v50, v8
	v_add_co_ci_u32_e64 v53, s1, v51, v9, s1
	s_clause 0x4
	global_load_b128 v[48:51], v[1:2], off
	global_load_b128 v[28:31], v[18:19], off
	;; [unrolled: 1-line block ×5, first 2 shown]
.LBB0_11:
	s_or_b32 exec_lo, exec_lo, s14
	s_and_saveexec_b32 s1, s0
	s_cbranch_execz .LBB0_13
; %bb.12:
	s_waitcnt vmcnt(11)
	v_add_f64 v[52:53], v[36:37], v[4:5]
	s_waitcnt vmcnt(0)
	v_add_f64 v[54:55], v[36:37], v[0:1]
	s_mov_b32 s38, 0xb2365da1
	s_mov_b32 s42, 0xd0032e0c
	;; [unrolled: 1-line block ×6, first 2 shown]
	v_add_f64 v[58:59], v[44:45], v[8:9]
	s_mov_b32 s36, 0xebaa3ed8
	s_mov_b32 s40, 0x1ea71119
	v_add_f64 v[60:61], v[38:39], -v[2:3]
	s_mov_b32 s37, 0x3fbedb7d
	s_mov_b32 s41, 0x3fe22d96
	;; [unrolled: 1-line block ×16, first 2 shown]
	v_add_f64 v[56:57], v[16:17], v[40:41]
	s_mov_b32 s4, 0x66966769
	v_add_f64 v[78:79], v[46:47], -v[10:11]
	s_mov_b32 s20, 0x42a4c3d2
	s_mov_b32 s5, 0xbfefc445
	;; [unrolled: 1-line block ×7, first 2 shown]
	v_add_f64 v[52:53], v[44:45], v[52:53]
	v_mul_f64 v[64:65], v[54:55], s[42:43]
	v_mul_f64 v[66:67], v[54:55], s[38:39]
	;; [unrolled: 1-line block ×6, first 2 shown]
	s_mov_b32 s28, s20
	v_mul_f64 v[82:83], v[58:59], s[36:37]
	v_mul_f64 v[84:85], v[58:59], s[42:43]
	;; [unrolled: 1-line block ×6, first 2 shown]
	s_mov_b32 s17, 0xbfddbe06
	s_mov_b32 s25, 0x3fddbe06
	;; [unrolled: 1-line block ×3, first 2 shown]
	v_add_f64 v[102:103], v[28:29], v[32:33]
	v_mad_u32_u24 v71, 0x68, v70, 0
	v_mul_f64 v[106:107], v[56:57], s[40:41]
	v_mul_f64 v[108:109], v[56:57], s[44:45]
	;; [unrolled: 1-line block ×6, first 2 shown]
	v_add_f64 v[52:53], v[40:41], v[52:53]
	v_fma_f64 v[92:93], v[60:61], s[18:19], v[64:65]
	v_fma_f64 v[64:65], v[60:61], s[26:27], v[64:65]
	;; [unrolled: 1-line block ×12, first 2 shown]
	v_add_f64 v[60:61], v[42:43], -v[18:19]
	v_fma_f64 v[116:117], v[78:79], s[4:5], v[82:83]
	v_fma_f64 v[82:83], v[78:79], s[34:35], v[82:83]
	v_fma_f64 v[118:119], v[78:79], s[26:27], v[84:85]
	v_fma_f64 v[84:85], v[78:79], s[18:19], v[84:85]
	v_fma_f64 v[114:115], v[78:79], s[16:17], v[80:81]
	v_fma_f64 v[80:81], v[78:79], s[24:25], v[80:81]
	v_fma_f64 v[120:121], v[78:79], s[14:15], v[86:87]
	v_fma_f64 v[86:87], v[78:79], s[22:23], v[86:87]
	v_fma_f64 v[122:123], v[78:79], s[10:11], v[88:89]
	v_fma_f64 v[88:89], v[78:79], s[30:31], v[88:89]
	v_fma_f64 v[124:125], v[78:79], s[28:29], v[58:59]
	v_fma_f64 v[58:59], v[78:79], s[20:21], v[58:59]
	v_mul_f64 v[128:129], v[102:103], s[46:47]
	v_mul_f64 v[130:131], v[102:103], s[36:37]
	;; [unrolled: 1-line block ×6, first 2 shown]
	v_add_f64 v[52:53], v[32:33], v[52:53]
	v_add_f64 v[64:65], v[64:65], v[4:5]
	;; [unrolled: 1-line block ×13, first 2 shown]
	v_add_f64 v[54:55], v[34:35], -v[30:31]
	v_add_f64 v[100:101], v[12:13], v[48:49]
	v_fma_f64 v[138:139], v[60:61], s[28:29], v[106:107]
	v_fma_f64 v[106:107], v[60:61], s[20:21], v[106:107]
	;; [unrolled: 1-line block ×12, first 2 shown]
	v_add_f64 v[52:53], v[12:13], v[52:53]
	v_add_f64 v[64:65], v[82:83], v[64:65]
	;; [unrolled: 1-line block ×13, first 2 shown]
	v_add_f64 v[86:87], v[14:15], -v[50:51]
	v_add_f64 v[88:89], v[20:21], v[24:25]
	v_mul_f64 v[92:93], v[100:101], s[44:45]
	v_mul_f64 v[94:95], v[100:101], s[46:47]
	v_fma_f64 v[120:121], v[54:55], s[14:15], v[128:129]
	v_fma_f64 v[124:125], v[54:55], s[4:5], v[130:131]
	v_mul_f64 v[90:91], v[100:101], s[38:39]
	v_fma_f64 v[114:115], v[54:55], s[20:21], v[126:127]
	v_fma_f64 v[116:117], v[54:55], s[28:29], v[126:127]
	;; [unrolled: 1-line block ×4, first 2 shown]
	v_mul_f64 v[96:97], v[100:101], s[40:41]
	v_mul_f64 v[98:99], v[100:101], s[36:37]
	v_fma_f64 v[126:127], v[54:55], s[16:17], v[132:133]
	v_fma_f64 v[130:131], v[54:55], s[26:27], v[134:135]
	;; [unrolled: 1-line block ×6, first 2 shown]
	v_mul_f64 v[100:101], v[100:101], s[42:43]
	v_add_f64 v[52:53], v[20:21], v[52:53]
	v_add_f64 v[64:65], v[106:107], v[64:65]
	;; [unrolled: 1-line block ×13, first 2 shown]
	v_add_f64 v[76:77], v[22:23], -v[26:27]
	v_mul_f64 v[102:103], v[88:89], s[36:37]
	v_mul_f64 v[104:105], v[88:89], s[38:39]
	;; [unrolled: 1-line block ×3, first 2 shown]
	v_fma_f64 v[136:137], v[86:87], s[16:17], v[92:93]
	v_fma_f64 v[92:93], v[86:87], s[24:25], v[92:93]
	;; [unrolled: 1-line block ×6, first 2 shown]
	v_mul_f64 v[108:109], v[88:89], s[42:43]
	v_mul_f64 v[110:111], v[88:89], s[44:45]
	v_fma_f64 v[140:141], v[86:87], s[28:29], v[96:97]
	v_fma_f64 v[142:143], v[86:87], s[4:5], v[98:99]
	;; [unrolled: 1-line block ×4, first 2 shown]
	v_mul_f64 v[88:89], v[88:89], s[46:47]
	v_fma_f64 v[144:145], v[86:87], s[18:19], v[100:101]
	v_fma_f64 v[86:87], v[86:87], s[26:27], v[100:101]
	v_add_f64 v[52:53], v[24:25], v[52:53]
	v_add_f64 v[64:65], v[120:121], v[64:65]
	;; [unrolled: 1-line block ×13, first 2 shown]
	v_fma_f64 v[58:59], v[76:77], s[4:5], v[102:103]
	v_fma_f64 v[100:101], v[76:77], s[34:35], v[102:103]
	;; [unrolled: 1-line block ×12, first 2 shown]
	v_add_f64 v[52:53], v[48:49], v[52:53]
	v_add_f64 v[64:65], v[92:93], v[64:65]
	;; [unrolled: 1-line block ×27, first 2 shown]
	s_delay_alu instid0(VALU_DEP_1) | instskip(NEXT) | instid1(VALU_DEP_1)
	v_add_f64 v[52:53], v[8:9], v[52:53]
	v_add_f64 v[52:53], v[0:1], v[52:53]
	ds_store_2addr_b64 v71, v[66:67], v[64:65] offset0:4 offset1:5
	ds_store_2addr_b64 v71, v[60:61], v[58:59] offset0:6 offset1:7
	;; [unrolled: 1-line block ×5, first 2 shown]
	ds_store_2addr_b64 v71, v[52:53], v[54:55] offset1:1
	ds_store_b64 v71, v[4:5] offset:96
.LBB0_13:
	s_or_b32 exec_lo, exec_lo, s1
	v_lshl_add_u32 v74, v70, 3, 0
	s_waitcnt vmcnt(0) lgkmcnt(0)
	s_barrier
	buffer_gl0_inv
	v_add_nc_u32_e32 v75, 0x1a00, v74
	v_add_nc_u32_e32 v76, 0xc00, v74
	;; [unrolled: 1-line block ×3, first 2 shown]
	ds_load_2addr_b64 v[52:55], v74 offset1:208
	ds_load_2addr_b64 v[60:63], v75 offset1:208
	ds_load_2addr_b64 v[56:59], v76 offset0:32 offset1:240
	ds_load_2addr_b64 v[64:67], v77 offset0:32 offset1:240
	s_waitcnt lgkmcnt(0)
	s_barrier
	buffer_gl0_inv
	s_and_saveexec_b32 s33, s0
	s_cbranch_execz .LBB0_15
; %bb.14:
	v_add_f64 v[4:5], v[38:39], v[6:7]
	v_add_f64 v[0:1], v[36:37], -v[0:1]
	s_mov_b32 s30, 0x42a4c3d2
	s_mov_b32 s16, 0x2ef20147
	;; [unrolled: 1-line block ×10, first 2 shown]
	v_add_f64 v[8:9], v[44:45], -v[8:9]
	v_add_f64 v[36:37], v[38:39], v[2:3]
	s_mov_b32 s34, 0x66966769
	s_mov_b32 s35, 0xbfefc445
	;; [unrolled: 1-line block ×17, first 2 shown]
	v_add_f64 v[16:17], v[40:41], -v[16:17]
	v_add_f64 v[40:41], v[46:47], v[10:11]
	s_mov_b32 s5, 0x3fbedb7d
	s_mov_b32 s39, 0x3fedeba7
	;; [unrolled: 1-line block ×3, first 2 shown]
	v_add_f64 v[28:29], v[32:33], -v[28:29]
	s_mov_b32 s41, 0x3fcea1e5
	v_add_f64 v[4:5], v[46:47], v[4:5]
	v_mul_f64 v[38:39], v[0:1], s[14:15]
	v_mul_f64 v[44:45], v[0:1], s[30:31]
	;; [unrolled: 1-line block ×6, first 2 shown]
	s_mov_b32 s15, 0x3fddbe06
	s_mov_b32 s40, s26
	v_add_f64 v[12:13], v[12:13], -v[48:49]
	v_add_f64 v[20:21], v[20:21], -v[24:25]
	v_mul_f64 v[46:47], v[8:9], s[30:31]
	v_mul_f64 v[84:85], v[8:9], s[16:17]
	;; [unrolled: 1-line block ×10, first 2 shown]
	s_mov_b32 s39, 0x3fea55e2
	s_mov_b32 s38, s30
	v_mul_f64 v[48:49], v[28:29], s[36:37]
	v_add_f64 v[4:5], v[42:43], v[4:5]
	v_fma_f64 v[92:93], v[36:37], s[0:1], -v[38:39]
	v_fma_f64 v[94:95], v[36:37], s[10:11], -v[44:45]
	v_fma_f64 v[44:45], v[36:37], s[10:11], v[44:45]
	v_fma_f64 v[96:97], v[36:37], s[18:19], -v[78:79]
	v_fma_f64 v[78:79], v[36:37], s[18:19], v[78:79]
	v_fma_f64 v[98:99], v[36:37], s[20:21], -v[80:81]
	v_fma_f64 v[100:101], v[36:37], s[24:25], -v[82:83]
	v_fma_f64 v[82:83], v[36:37], s[24:25], v[82:83]
	v_fma_f64 v[80:81], v[36:37], s[20:21], v[80:81]
	;; [unrolled: 1-line block ×3, first 2 shown]
	v_fma_f64 v[0:1], v[36:37], s[4:5], -v[0:1]
	v_fma_f64 v[36:37], v[36:37], s[0:1], v[38:39]
	v_add_f64 v[38:39], v[18:19], v[42:43]
	v_mul_f64 v[42:43], v[16:17], s[26:27]
	v_mul_f64 v[16:17], v[16:17], s[14:15]
	v_fma_f64 v[110:111], v[40:41], s[10:11], -v[46:47]
	v_fma_f64 v[46:47], v[40:41], s[10:11], v[46:47]
	v_fma_f64 v[112:113], v[40:41], s[18:19], -v[84:85]
	v_fma_f64 v[84:85], v[40:41], s[18:19], v[84:85]
	;; [unrolled: 2-line block ×6, first 2 shown]
	v_mul_f64 v[122:123], v[28:29], s[40:41]
	v_mul_f64 v[124:125], v[28:29], s[38:39]
	;; [unrolled: 1-line block ×3, first 2 shown]
	v_add_f64 v[4:5], v[34:35], v[4:5]
	v_add_f64 v[40:41], v[92:93], v[6:7]
	;; [unrolled: 1-line block ×14, first 2 shown]
	v_mul_f64 v[36:37], v[28:29], s[16:17]
	v_mul_f64 v[102:103], v[28:29], s[34:35]
	v_mul_f64 v[28:29], v[28:29], s[14:15]
	v_fma_f64 v[126:127], v[38:39], s[4:5], -v[32:33]
	v_fma_f64 v[32:33], v[38:39], s[4:5], v[32:33]
	v_fma_f64 v[128:129], v[38:39], s[24:25], -v[42:43]
	v_fma_f64 v[42:43], v[38:39], s[24:25], v[42:43]
	;; [unrolled: 2-line block ×6, first 2 shown]
	v_add_f64 v[4:5], v[14:15], v[4:5]
	v_add_f64 v[38:39], v[110:111], v[40:41]
	;; [unrolled: 1-line block ×14, first 2 shown]
	v_mul_f64 v[46:47], v[12:13], s[28:29]
	v_mul_f64 v[86:87], v[12:13], s[40:41]
	;; [unrolled: 1-line block ×3, first 2 shown]
	v_fma_f64 v[94:95], v[34:35], s[18:19], -v[36:37]
	v_fma_f64 v[36:37], v[34:35], s[18:19], v[36:37]
	v_fma_f64 v[96:97], v[34:35], s[20:21], -v[48:49]
	v_fma_f64 v[48:49], v[34:35], s[20:21], v[48:49]
	;; [unrolled: 2-line block ×6, first 2 shown]
	v_add_f64 v[4:5], v[22:23], v[4:5]
	v_add_f64 v[34:35], v[126:127], v[38:39]
	;; [unrolled: 1-line block ×14, first 2 shown]
	v_mul_f64 v[32:33], v[20:21], s[38:39]
	v_mul_f64 v[84:85], v[20:21], s[16:17]
	;; [unrolled: 1-line block ×3, first 2 shown]
	v_fma_f64 v[92:93], v[14:15], s[20:21], -v[24:25]
	v_fma_f64 v[24:25], v[14:15], s[20:21], v[24:25]
	v_fma_f64 v[104:105], v[14:15], s[4:5], -v[46:47]
	v_fma_f64 v[46:47], v[14:15], s[4:5], v[46:47]
	;; [unrolled: 2-line block ×4, first 2 shown]
	v_add_f64 v[4:5], v[26:27], v[4:5]
	v_mul_f64 v[26:27], v[20:21], s[26:27]
	v_add_f64 v[16:17], v[100:101], v[16:17]
	v_add_f64 v[8:9], v[114:115], v[8:9]
	;; [unrolled: 1-line block ×5, first 2 shown]
	v_fma_f64 v[82:83], v[22:23], s[18:19], v[84:85]
	v_add_f64 v[4:5], v[50:51], v[4:5]
	v_mul_f64 v[50:51], v[12:13], s[30:31]
	v_mul_f64 v[12:13], v[12:13], s[14:15]
	v_add_f64 v[16:17], v[86:87], v[16:17]
	v_add_f64 v[8:9], v[90:91], v[8:9]
	;; [unrolled: 1-line block ×4, first 2 shown]
	v_mul_f64 v[30:31], v[20:21], s[22:23]
	v_mul_f64 v[20:21], v[20:21], s[14:15]
	v_fma_f64 v[106:107], v[14:15], s[10:11], -v[50:51]
	v_fma_f64 v[50:51], v[14:15], s[10:11], v[50:51]
	v_fma_f64 v[120:121], v[14:15], s[0:1], -v[12:13]
	v_fma_f64 v[12:13], v[14:15], s[0:1], v[12:13]
	v_add_f64 v[14:15], v[94:95], v[34:35]
	v_add_f64 v[34:35], v[96:97], v[38:39]
	;; [unrolled: 1-line block ×7, first 2 shown]
	v_fma_f64 v[78:79], v[22:23], s[10:11], -v[32:33]
	v_fma_f64 v[32:33], v[22:23], s[10:11], v[32:33]
	v_fma_f64 v[80:81], v[22:23], s[18:19], -v[84:85]
	v_fma_f64 v[84:85], v[22:23], s[4:5], -v[88:89]
	v_fma_f64 v[88:89], v[22:23], s[4:5], v[88:89]
	v_add_f64 v[4:5], v[18:19], v[4:5]
	v_fma_f64 v[18:19], v[22:23], s[24:25], -v[26:27]
	v_fma_f64 v[26:27], v[22:23], s[24:25], v[26:27]
	v_fma_f64 v[36:37], v[22:23], s[20:21], -v[30:31]
	v_fma_f64 v[30:31], v[22:23], s[20:21], v[30:31]
	;; [unrolled: 2-line block ×3, first 2 shown]
	v_add_f64 v[14:15], v[92:93], v[14:15]
	v_add_f64 v[22:23], v[104:105], v[34:35]
	;; [unrolled: 1-line block ×23, first 2 shown]
	v_mad_u32_u24 v6, 0x60, v70, v74
	ds_store_2addr_b64 v6, v[20:21], v[22:23] offset0:4 offset1:5
	ds_store_2addr_b64 v6, v[24:25], v[8:9] offset0:6 offset1:7
	;; [unrolled: 1-line block ×4, first 2 shown]
	ds_store_2addr_b64 v6, v[2:3], v[10:11] offset1:1
	ds_store_2addr_b64 v6, v[14:15], v[0:1] offset0:2 offset1:3
	ds_store_b64 v6, v[4:5] offset:96
.LBB0_15:
	s_or_b32 exec_lo, exec_lo, s33
	v_add_nc_u32_e32 v20, 0xd0, v70
	v_add_nc_u32_e32 v18, 0x1a0, v70
	;; [unrolled: 1-line block ×3, first 2 shown]
	v_and_b32_e32 v0, 0xff, v70
	s_load_b64 s[2:3], s[2:3], 0x0
	v_and_b32_e32 v1, 0xffff, v20
	v_and_b32_e32 v2, 0xffff, v18
	;; [unrolled: 1-line block ×3, first 2 shown]
	v_mul_lo_u16 v71, 0x4f, v0
	s_waitcnt lgkmcnt(0)
	v_mul_u32_u24_e32 v78, 0x4ec5, v1
	v_mul_u32_u24_e32 v1, 0x4ec5, v2
	;; [unrolled: 1-line block ×3, first 2 shown]
	v_lshrrev_b16 v37, 10, v71
	s_barrier
	v_lshrrev_b32_e32 v38, 18, v78
	v_lshrrev_b32_e32 v39, 18, v1
	;; [unrolled: 1-line block ×3, first 2 shown]
	v_mul_lo_u16 v2, v37, 13
	buffer_gl0_inv
	v_mul_lo_u16 v3, v38, 13
	v_mul_lo_u16 v4, v39, 13
	;; [unrolled: 1-line block ×3, first 2 shown]
	v_sub_nc_u16 v2, v70, v2
	v_and_b32_e32 v37, 0xffff, v37
	v_sub_nc_u16 v3, v20, v3
	v_sub_nc_u16 v4, v18, v4
	;; [unrolled: 1-line block ×3, first 2 shown]
	v_and_b32_e32 v45, 0xff, v2
	v_mul_u32_u24_e32 v49, 0xd0, v37
	v_and_b32_e32 v46, 0xffff, v3
	v_and_b32_e32 v47, 0xffff, v4
	;; [unrolled: 1-line block ×3, first 2 shown]
	v_lshlrev_b32_e32 v2, 4, v45
	v_mul_u32_u24_e32 v50, 0xd0, v38
	v_lshlrev_b32_e32 v6, 4, v46
	v_lshlrev_b32_e32 v10, 4, v47
	;; [unrolled: 1-line block ×3, first 2 shown]
	v_mul_u32_u24_e32 v51, 0xd0, v39
	s_clause 0x3
	global_load_b128 v[2:5], v2, s[8:9]
	global_load_b128 v[6:9], v6, s[8:9]
	;; [unrolled: 1-line block ×4, first 2 shown]
	ds_load_2addr_b64 v[21:24], v75 offset1:208
	ds_load_2addr_b64 v[25:28], v77 offset0:32 offset1:240
	v_lshrrev_b32_e32 v80, 20, v78
	s_waitcnt vmcnt(3) lgkmcnt(1)
	v_mul_f64 v[29:30], v[21:22], v[4:5]
	s_waitcnt vmcnt(2)
	v_mul_f64 v[31:32], v[23:24], v[8:9]
	s_waitcnt vmcnt(1) lgkmcnt(0)
	v_mul_f64 v[33:34], v[25:26], v[12:13]
	v_mul_f64 v[4:5], v[60:61], v[4:5]
	;; [unrolled: 1-line block ×4, first 2 shown]
	s_waitcnt vmcnt(0)
	v_mul_f64 v[35:36], v[27:28], v[16:17]
	v_mul_f64 v[16:17], v[66:67], v[16:17]
	v_fma_f64 v[29:30], v[60:61], v[2:3], v[29:30]
	v_fma_f64 v[31:32], v[62:63], v[6:7], v[31:32]
	;; [unrolled: 1-line block ×3, first 2 shown]
	v_fma_f64 v[21:22], v[21:22], v[2:3], -v[4:5]
	v_fma_f64 v[23:24], v[23:24], v[6:7], -v[8:9]
	v_fma_f64 v[10:11], v[25:26], v[10:11], -v[12:13]
	v_fma_f64 v[35:36], v[66:67], v[14:15], v[35:36]
	v_fma_f64 v[12:13], v[27:28], v[14:15], -v[16:17]
	ds_load_2addr_b64 v[2:5], v74 offset1:208
	ds_load_2addr_b64 v[6:9], v76 offset0:32 offset1:240
	v_lshrrev_b16 v60, 11, v71
	v_lshrrev_b32_e32 v61, 19, v78
	v_lshrrev_b16 v67, 12, v71
	v_mov_b32_e32 v71, 0
	v_lshrrev_b32_e32 v62, 19, v1
	v_mul_lo_u16 v41, v60, 26
	v_mul_lo_u16 v38, v61, 26
	v_lshrrev_b32_e32 v63, 19, v0
	s_waitcnt lgkmcnt(0)
	s_barrier
	v_sub_nc_u16 v37, v70, v41
	buffer_gl0_inv
	v_lshrrev_b32_e32 v1, 22, v1
	v_lshrrev_b32_e32 v0, 22, v0
	v_add_f64 v[14:15], v[52:53], -v[29:30]
	v_add_f64 v[16:17], v[54:55], -v[31:32]
	;; [unrolled: 1-line block ×8, first 2 shown]
	v_fma_f64 v[10:11], v[52:53], 2.0, -v[14:15]
	v_fma_f64 v[12:13], v[54:55], 2.0, -v[16:17]
	;; [unrolled: 1-line block ×3, first 2 shown]
	v_and_b32_e32 v55, 0xff, v37
	v_sub_nc_u16 v56, v20, v38
	v_fma_f64 v[37:38], v[2:3], 2.0, -v[21:22]
	v_mul_u32_u24_e32 v52, 0xd0, v40
	v_fma_f64 v[39:40], v[4:5], 2.0, -v[23:24]
	v_fma_f64 v[41:42], v[6:7], 2.0, -v[29:30]
	v_fma_f64 v[35:36], v[58:59], 2.0, -v[27:28]
	v_fma_f64 v[43:44], v[8:9], 2.0, -v[31:32]
	v_mul_lo_u16 v53, v62, 26
	v_mul_lo_u16 v54, v63, 26
	v_lshlrev_b32_e32 v4, 3, v45
	v_lshlrev_b32_e32 v45, 4, v55
	s_delay_alu instid0(VALU_DEP_4) | instskip(NEXT) | instid1(VALU_DEP_4)
	v_sub_nc_u16 v2, v18, v53
	v_sub_nc_u16 v3, v19, v54
	v_and_b32_e32 v53, 0xffff, v56
	v_add3_u32 v49, 0, v49, v4
	v_lshlrev_b32_e32 v4, 3, v48
	v_and_b32_e32 v54, 0xffff, v2
	v_lshlrev_b32_e32 v2, 3, v46
	v_and_b32_e32 v56, 0xffff, v3
	v_lshlrev_b32_e32 v3, 3, v47
	v_lshlrev_b32_e32 v46, 4, v53
	;; [unrolled: 1-line block ×3, first 2 shown]
	v_add3_u32 v50, 0, v50, v2
	v_lshlrev_b32_e32 v48, 4, v56
	v_add3_u32 v51, 0, v51, v3
	v_add3_u32 v52, 0, v52, v4
	ds_store_2addr_b64 v49, v[10:11], v[14:15] offset1:13
	ds_store_2addr_b64 v50, v[12:13], v[16:17] offset1:13
	;; [unrolled: 1-line block ×4, first 2 shown]
	s_waitcnt lgkmcnt(0)
	s_barrier
	buffer_gl0_inv
	ds_load_2addr_b64 v[2:5], v74 offset1:208
	ds_load_2addr_b64 v[6:9], v75 offset1:208
	ds_load_2addr_b64 v[10:13], v76 offset0:32 offset1:240
	ds_load_2addr_b64 v[14:17], v77 offset0:32 offset1:240
	s_waitcnt lgkmcnt(0)
	s_barrier
	buffer_gl0_inv
	ds_store_2addr_b64 v49, v[37:38], v[21:22] offset1:13
	ds_store_2addr_b64 v50, v[39:40], v[23:24] offset1:13
	;; [unrolled: 1-line block ×4, first 2 shown]
	s_waitcnt lgkmcnt(0)
	s_barrier
	buffer_gl0_inv
	s_clause 0x3
	global_load_b128 v[21:24], v45, s[8:9] offset:208
	global_load_b128 v[25:28], v46, s[8:9] offset:208
	;; [unrolled: 1-line block ×4, first 2 shown]
	ds_load_2addr_b64 v[37:40], v75 offset1:208
	ds_load_2addr_b64 v[41:44], v77 offset0:32 offset1:240
	s_waitcnt vmcnt(3) lgkmcnt(1)
	v_mul_f64 v[45:46], v[37:38], v[23:24]
	v_mul_f64 v[23:24], v[6:7], v[23:24]
	s_waitcnt vmcnt(2)
	v_mul_f64 v[47:48], v[39:40], v[27:28]
	v_mul_f64 v[27:28], v[8:9], v[27:28]
	s_waitcnt vmcnt(1) lgkmcnt(0)
	v_mul_f64 v[49:50], v[41:42], v[31:32]
	v_mul_f64 v[31:32], v[14:15], v[31:32]
	s_waitcnt vmcnt(0)
	v_mul_f64 v[51:52], v[43:44], v[35:36]
	v_mul_f64 v[35:36], v[16:17], v[35:36]
	v_fma_f64 v[45:46], v[6:7], v[21:22], v[45:46]
	v_fma_f64 v[21:22], v[37:38], v[21:22], -v[23:24]
	v_fma_f64 v[47:48], v[8:9], v[25:26], v[47:48]
	v_fma_f64 v[23:24], v[39:40], v[25:26], -v[27:28]
	;; [unrolled: 2-line block ×4, first 2 shown]
	ds_load_2addr_b64 v[6:9], v74 offset1:208
	ds_load_2addr_b64 v[14:17], v76 offset0:32 offset1:240
	v_and_b32_e32 v37, 0xffff, v60
	v_mul_lo_u16 v38, v67, 52
	s_waitcnt lgkmcnt(0)
	s_barrier
	buffer_gl0_inv
	v_add_f64 v[29:30], v[2:3], -v[45:46]
	v_add_f64 v[21:22], v[6:7], -v[21:22]
	v_add_f64 v[31:32], v[4:5], -v[47:48]
	v_add_f64 v[23:24], v[8:9], -v[23:24]
	v_add_f64 v[33:34], v[10:11], -v[49:50]
	v_add_f64 v[25:26], v[14:15], -v[25:26]
	v_add_f64 v[35:36], v[12:13], -v[51:52]
	v_add_f64 v[27:28], v[16:17], -v[27:28]
	v_mul_u32_u24_e32 v45, 0x1a0, v37
	v_sub_nc_u16 v47, v70, v38
	v_mul_lo_u16 v48, v80, 52
	v_mul_u32_u24_e32 v46, 0x1a0, v61
	s_delay_alu instid0(VALU_DEP_3)
	v_and_b32_e32 v81, 0xff, v47
	v_fma_f64 v[2:3], v[2:3], 2.0, -v[29:30]
	v_fma_f64 v[37:38], v[6:7], 2.0, -v[21:22]
	;; [unrolled: 1-line block ×8, first 2 shown]
	v_sub_nc_u16 v6, v20, v48
	v_lshlrev_b32_e32 v7, 3, v55
	v_mul_u32_u24_e32 v14, 3, v81
	v_mul_u32_u24_e32 v8, 0x1a0, v62
	;; [unrolled: 1-line block ×3, first 2 shown]
	v_and_b32_e32 v82, 0xffff, v6
	v_lshlrev_b32_e32 v6, 3, v53
	v_add3_u32 v45, 0, v45, v7
	v_lshlrev_b32_e32 v7, 3, v54
	v_lshlrev_b32_e32 v15, 3, v56
	v_mul_u32_u24_e32 v16, 3, v82
	v_lshlrev_b32_e32 v47, 4, v14
	v_add3_u32 v46, 0, v46, v6
	v_add3_u32 v48, 0, v8, v7
	;; [unrolled: 1-line block ×3, first 2 shown]
	v_lshlrev_b32_e32 v50, 4, v16
	ds_store_2addr_b64 v45, v[2:3], v[29:30] offset1:26
	ds_store_2addr_b64 v46, v[4:5], v[31:32] offset1:26
	;; [unrolled: 1-line block ×4, first 2 shown]
	s_waitcnt lgkmcnt(0)
	s_barrier
	buffer_gl0_inv
	ds_load_2addr_b64 v[2:5], v74 offset1:208
	ds_load_2addr_b64 v[6:9], v76 offset0:32 offset1:240
	ds_load_2addr_b64 v[10:13], v75 offset1:208
	ds_load_2addr_b64 v[14:17], v77 offset0:32 offset1:240
	s_waitcnt lgkmcnt(0)
	s_barrier
	buffer_gl0_inv
	ds_store_2addr_b64 v45, v[37:38], v[21:22] offset1:26
	ds_store_2addr_b64 v46, v[39:40], v[23:24] offset1:26
	;; [unrolled: 1-line block ×4, first 2 shown]
	s_waitcnt lgkmcnt(0)
	s_barrier
	buffer_gl0_inv
	s_clause 0x5
	global_load_b128 v[21:24], v47, s[8:9] offset:624
	global_load_b128 v[25:28], v47, s[8:9] offset:640
	;; [unrolled: 1-line block ×6, first 2 shown]
	ds_load_2addr_b64 v[45:48], v76 offset0:32 offset1:240
	ds_load_2addr_b64 v[49:52], v75 offset1:208
	ds_load_2addr_b64 v[53:56], v77 offset0:32 offset1:240
	s_waitcnt vmcnt(5) lgkmcnt(2)
	v_mul_f64 v[57:58], v[45:46], v[23:24]
	s_waitcnt vmcnt(4) lgkmcnt(1)
	v_mul_f64 v[59:60], v[49:50], v[27:28]
	;; [unrolled: 2-line block ×3, first 2 shown]
	v_mul_f64 v[23:24], v[6:7], v[23:24]
	v_mul_f64 v[27:28], v[10:11], v[27:28]
	;; [unrolled: 1-line block ×3, first 2 shown]
	s_waitcnt vmcnt(2)
	v_mul_f64 v[63:64], v[47:48], v[35:36]
	s_waitcnt vmcnt(1)
	v_mul_f64 v[65:66], v[51:52], v[39:40]
	;; [unrolled: 2-line block ×3, first 2 shown]
	v_mul_f64 v[35:36], v[8:9], v[35:36]
	v_mul_f64 v[39:40], v[12:13], v[39:40]
	;; [unrolled: 1-line block ×3, first 2 shown]
	v_fma_f64 v[57:58], v[6:7], v[21:22], v[57:58]
	v_fma_f64 v[10:11], v[10:11], v[25:26], v[59:60]
	;; [unrolled: 1-line block ×3, first 2 shown]
	v_fma_f64 v[21:22], v[45:46], v[21:22], -v[23:24]
	v_fma_f64 v[23:24], v[49:50], v[25:26], -v[27:28]
	;; [unrolled: 1-line block ×3, first 2 shown]
	v_fma_f64 v[59:60], v[8:9], v[33:34], v[63:64]
	v_fma_f64 v[12:13], v[12:13], v[37:38], v[65:66]
	;; [unrolled: 1-line block ×3, first 2 shown]
	v_fma_f64 v[27:28], v[47:48], v[33:34], -v[35:36]
	v_fma_f64 v[29:30], v[51:52], v[37:38], -v[39:40]
	;; [unrolled: 1-line block ×3, first 2 shown]
	ds_load_2addr_b64 v[6:9], v74 offset1:208
	s_waitcnt lgkmcnt(0)
	s_barrier
	buffer_gl0_inv
	v_add_f64 v[10:11], v[2:3], -v[10:11]
	v_add_f64 v[14:15], v[57:58], -v[14:15]
	;; [unrolled: 1-line block ×8, first 2 shown]
	v_fma_f64 v[2:3], v[2:3], 2.0, -v[10:11]
	v_fma_f64 v[33:34], v[57:58], 2.0, -v[14:15]
	;; [unrolled: 1-line block ×4, first 2 shown]
	v_add_f64 v[37:38], v[23:24], -v[14:15]
	v_fma_f64 v[4:5], v[4:5], 2.0, -v[12:13]
	v_fma_f64 v[35:36], v[59:60], 2.0, -v[16:17]
	v_add_f64 v[25:26], v[10:11], v[25:26]
	v_fma_f64 v[8:9], v[8:9], 2.0, -v[29:30]
	v_fma_f64 v[27:28], v[27:28], 2.0, -v[31:32]
	v_add_f64 v[31:32], v[12:13], v[31:32]
	v_add_f64 v[39:40], v[29:30], -v[16:17]
	v_mul_lo_u16 v15, 0xd0, v1
	v_mul_lo_u16 v16, 0xd0, v0
	v_and_b32_e32 v14, 0xffff, v67
	v_lshlrev_b64 v[0:1], 4, v[70:71]
	v_add_f64 v[33:34], v[2:3], -v[33:34]
	v_add_f64 v[21:22], v[6:7], -v[21:22]
	v_fma_f64 v[23:24], v[23:24], 2.0, -v[37:38]
	v_add_f64 v[35:36], v[4:5], -v[35:36]
	v_fma_f64 v[10:11], v[10:11], 2.0, -v[25:26]
	;; [unrolled: 2-line block ×3, first 2 shown]
	v_fma_f64 v[29:30], v[29:30], 2.0, -v[39:40]
	v_fma_f64 v[2:3], v[2:3], 2.0, -v[33:34]
	;; [unrolled: 1-line block ×3, first 2 shown]
	v_sub_nc_u16 v6, v18, v15
	v_sub_nc_u16 v7, v19, v16
	v_fma_f64 v[4:5], v[4:5], 2.0, -v[35:36]
	v_add_co_u32 v16, s0, s8, v0
	v_fma_f64 v[43:44], v[8:9], 2.0, -v[27:28]
	v_mul_u32_u24_e32 v8, 0x680, v14
	v_lshlrev_b32_e32 v14, 3, v81
	v_and_b32_e32 v51, 0xffff, v6
	v_mul_u32_u24_e32 v9, 0x680, v80
	v_and_b32_e32 v52, 0xffff, v7
	v_lshlrev_b32_e32 v6, 3, v82
	v_add_co_ci_u32_e64 v17, s0, s9, v1, s0
	v_add3_u32 v45, 0, v8, v14
	v_lshlrev_b32_e32 v46, 4, v51
	v_lshlrev_b32_e32 v47, 4, v52
	v_add3_u32 v48, 0, v9, v6
	ds_store_2addr_b64 v45, v[33:34], v[25:26] offset0:104 offset1:156
	ds_store_2addr_b64 v45, v[2:3], v[10:11] offset1:52
	ds_store_2addr_b64 v48, v[4:5], v[12:13] offset1:52
	ds_store_2addr_b64 v48, v[35:36], v[31:32] offset0:104 offset1:156
	s_waitcnt lgkmcnt(0)
	s_barrier
	buffer_gl0_inv
	ds_load_2addr_b64 v[0:3], v74 offset1:208
	ds_load_2addr_b64 v[4:7], v75 offset1:208
	ds_load_2addr_b64 v[8:11], v76 offset0:32 offset1:240
	ds_load_2addr_b64 v[12:15], v77 offset0:32 offset1:240
	s_waitcnt lgkmcnt(0)
	s_barrier
	buffer_gl0_inv
	ds_store_2addr_b64 v45, v[41:42], v[23:24] offset1:52
	ds_store_2addr_b64 v45, v[21:22], v[37:38] offset0:104 offset1:156
	ds_store_2addr_b64 v48, v[43:44], v[29:30] offset1:52
	ds_store_2addr_b64 v48, v[27:28], v[39:40] offset0:104 offset1:156
	s_waitcnt lgkmcnt(0)
	s_barrier
	buffer_gl0_inv
	s_clause 0x2
	global_load_b128 v[21:24], v[16:17], off offset:3120
	global_load_b128 v[25:28], v46, s[8:9] offset:3120
	global_load_b128 v[29:32], v47, s[8:9] offset:3120
	ds_load_2addr_b64 v[33:36], v75 offset1:208
	ds_load_2addr_b64 v[37:40], v77 offset0:32 offset1:240
	s_waitcnt vmcnt(2) lgkmcnt(1)
	v_mul_f64 v[41:42], v[33:34], v[23:24]
	v_mul_f64 v[49:50], v[4:5], v[23:24]
	;; [unrolled: 1-line block ×4, first 2 shown]
	s_waitcnt vmcnt(1) lgkmcnt(0)
	v_mul_f64 v[45:46], v[37:38], v[27:28]
	v_mul_f64 v[27:28], v[12:13], v[27:28]
	s_waitcnt vmcnt(0)
	v_mul_f64 v[47:48], v[39:40], v[31:32]
	v_mul_f64 v[31:32], v[14:15], v[31:32]
	v_fma_f64 v[41:42], v[4:5], v[21:22], v[41:42]
	v_fma_f64 v[33:34], v[33:34], v[21:22], -v[49:50]
	v_fma_f64 v[43:44], v[6:7], v[21:22], v[43:44]
	v_fma_f64 v[21:22], v[35:36], v[21:22], -v[23:24]
	;; [unrolled: 2-line block ×4, first 2 shown]
	ds_load_2addr_b64 v[4:7], v74 offset1:208
	ds_load_2addr_b64 v[12:15], v76 offset0:32 offset1:240
	s_waitcnt lgkmcnt(0)
	s_barrier
	buffer_gl0_inv
	v_add_f64 v[27:28], v[0:1], -v[41:42]
	v_add_f64 v[33:34], v[4:5], -v[33:34]
	;; [unrolled: 1-line block ×8, first 2 shown]
	v_add_co_u32 v45, s0, 0x1000, v16
	s_delay_alu instid0(VALU_DEP_1) | instskip(SKIP_1) | instid1(VALU_DEP_1)
	v_add_co_ci_u32_e64 v46, s0, 0, v17, s0
	v_add_co_u32 v47, s0, 0x2000, v16
	v_add_co_ci_u32_e64 v48, s0, 0, v17, s0
	v_fma_f64 v[0:1], v[0:1], 2.0, -v[27:28]
	v_fma_f64 v[37:38], v[4:5], 2.0, -v[33:34]
	;; [unrolled: 1-line block ×8, first 2 shown]
	v_lshl_add_u32 v4, v51, 3, 0
	v_lshl_add_u32 v5, v52, 3, 0
	s_delay_alu instid0(VALU_DEP_2) | instskip(NEXT) | instid1(VALU_DEP_2)
	v_add_nc_u32_e32 v49, 0x1a00, v4
	v_add_nc_u32_e32 v50, 0x2600, v5
	ds_store_2addr_b64 v74, v[0:1], v[27:28] offset1:208
	ds_store_2addr_b64 v76, v[2:3], v[29:30] offset0:32 offset1:240
	ds_store_2addr_b64 v49, v[8:9], v[31:32] offset1:208
	ds_store_2addr_b64 v50, v[10:11], v[35:36] offset0:32 offset1:240
	s_waitcnt lgkmcnt(0)
	s_barrier
	buffer_gl0_inv
	ds_load_2addr_b64 v[0:3], v74 offset1:208
	ds_load_2addr_b64 v[4:7], v75 offset1:208
	ds_load_2addr_b64 v[8:11], v76 offset0:32 offset1:240
	ds_load_2addr_b64 v[12:15], v77 offset0:32 offset1:240
	s_waitcnt lgkmcnt(0)
	s_barrier
	buffer_gl0_inv
	ds_store_2addr_b64 v74, v[37:38], v[33:34] offset1:208
	ds_store_2addr_b64 v76, v[39:40], v[21:22] offset0:32 offset1:240
	ds_store_2addr_b64 v49, v[41:42], v[23:24] offset1:208
	ds_store_2addr_b64 v50, v[43:44], v[25:26] offset0:32 offset1:240
	s_waitcnt lgkmcnt(0)
	s_barrier
	buffer_gl0_inv
	s_clause 0x1
	global_load_b128 v[21:24], v[45:46], off offset:2352
	global_load_b128 v[25:28], v[47:48], off offset:1584
	ds_load_2addr_b64 v[29:32], v75 offset1:208
	ds_load_2addr_b64 v[33:36], v77 offset0:32 offset1:240
	s_waitcnt vmcnt(1) lgkmcnt(1)
	v_mul_f64 v[37:38], v[29:30], v[23:24]
	s_waitcnt vmcnt(0)
	v_mul_f64 v[39:40], v[31:32], v[27:28]
	s_waitcnt lgkmcnt(0)
	v_mul_f64 v[41:42], v[33:34], v[23:24]
	v_mul_f64 v[43:44], v[35:36], v[27:28]
	;; [unrolled: 1-line block ×6, first 2 shown]
	v_fma_f64 v[37:38], v[4:5], v[21:22], v[37:38]
	v_fma_f64 v[39:40], v[6:7], v[25:26], v[39:40]
	;; [unrolled: 1-line block ×4, first 2 shown]
	v_fma_f64 v[29:30], v[29:30], v[21:22], -v[45:46]
	v_fma_f64 v[31:32], v[31:32], v[25:26], -v[47:48]
	;; [unrolled: 1-line block ×4, first 2 shown]
	ds_load_2addr_b64 v[4:7], v74 offset1:208
	v_add_f64 v[25:26], v[0:1], -v[37:38]
	v_add_f64 v[27:28], v[2:3], -v[39:40]
	;; [unrolled: 1-line block ×4, first 2 shown]
	ds_load_2addr_b64 v[12:15], v76 offset0:32 offset1:240
	s_waitcnt lgkmcnt(1)
	v_add_f64 v[29:30], v[4:5], -v[29:30]
	v_add_f64 v[31:32], v[6:7], -v[31:32]
	s_waitcnt lgkmcnt(0)
	s_barrier
	buffer_gl0_inv
	v_add_f64 v[21:22], v[12:13], -v[21:22]
	v_add_f64 v[23:24], v[14:15], -v[23:24]
	v_fma_f64 v[0:1], v[0:1], 2.0, -v[25:26]
	v_fma_f64 v[2:3], v[2:3], 2.0, -v[27:28]
	;; [unrolled: 1-line block ×4, first 2 shown]
	ds_store_2addr_b64 v76, v[25:26], v[27:28] offset0:32 offset1:240
	ds_store_2addr_b64 v77, v[33:34], v[35:36] offset0:32 offset1:240
	ds_store_2addr_b64 v74, v[0:1], v[2:3] offset1:208
	ds_store_2addr_b64 v75, v[8:9], v[10:11] offset1:208
	v_fma_f64 v[37:38], v[4:5], 2.0, -v[29:30]
	v_fma_f64 v[39:40], v[6:7], 2.0, -v[31:32]
	;; [unrolled: 1-line block ×4, first 2 shown]
	s_waitcnt lgkmcnt(0)
	s_barrier
	buffer_gl0_inv
	ds_load_2addr_b64 v[4:7], v74 offset1:208
	ds_load_2addr_b64 v[12:15], v75 offset1:208
	ds_load_2addr_b64 v[0:3], v76 offset0:32 offset1:240
	ds_load_2addr_b64 v[8:11], v77 offset0:32 offset1:240
	s_waitcnt lgkmcnt(0)
	s_barrier
	buffer_gl0_inv
	ds_store_2addr_b64 v74, v[37:38], v[39:40] offset1:208
	ds_store_2addr_b64 v76, v[29:30], v[31:32] offset0:32 offset1:240
	ds_store_2addr_b64 v75, v[41:42], v[43:44] offset1:208
	ds_store_2addr_b64 v77, v[21:22], v[23:24] offset0:32 offset1:240
	s_waitcnt lgkmcnt(0)
	s_barrier
	buffer_gl0_inv
	s_and_saveexec_b32 s0, vcc_lo
	s_cbranch_execz .LBB0_17
; %bb.16:
	v_add_co_u32 v21, vcc_lo, 0x5000, v16
	v_add_co_ci_u32_e32 v22, vcc_lo, 0, v17, vcc_lo
	v_add_co_u32 v25, vcc_lo, 0xd00, v16
	v_add_co_ci_u32_e32 v26, vcc_lo, 0, v17, vcc_lo
	global_load_b128 v[21:24], v[21:22], off offset:2608
	v_add_co_u32 v29, vcc_lo, 0x3000, v25
	v_add_co_ci_u32_e32 v30, vcc_lo, 0, v26, vcc_lo
	v_add_co_u32 v25, vcc_lo, 0x3000, v16
	v_add_co_ci_u32_e32 v26, vcc_lo, 0, v17, vcc_lo
	;; [unrolled: 2-line block ×3, first 2 shown]
	s_clause 0x2
	global_load_b128 v[25:28], v[25:26], off offset:816
	global_load_b128 v[29:32], v[29:30], off offset:816
	;; [unrolled: 1-line block ×3, first 2 shown]
	v_lshlrev_b64 v[63:64], 4, v[68:69]
	v_add_nc_u32_e32 v69, 0x340, v70
	v_add_nc_u32_e32 v17, 0x2600, v74
	v_mad_u64_u32 v[61:62], null, s12, v70, 0
	v_mul_lo_u32 v75, s3, v72
	s_delay_alu instid0(VALU_DEP_4)
	v_mad_u64_u32 v[67:68], null, s12, v69, 0
	v_add_nc_u32_e32 v16, 0x1a00, v74
	ds_load_2addr_b64 v[37:40], v16 offset1:208
	ds_load_2addr_b64 v[41:44], v17 offset0:32 offset1:240
	v_mul_lo_u32 v73, s2, v73
	v_mad_u64_u32 v[59:60], null, s2, v72, 0
	v_mul_hi_u32 v77, 0x4ec4ec4f, v19
	ds_load_2addr_b64 v[45:48], v74 offset1:208
	v_mad_u64_u32 v[65:66], null, s12, v20, 0
	v_mul_hi_u32 v76, 0x4ec4ec4f, v18
	v_add3_u32 v60, v60, v73, v75
	s_delay_alu instid0(VALU_DEP_2)
	v_lshrrev_b32_e32 v73, 8, v76
	s_waitcnt vmcnt(3)
	v_mul_f64 v[16:17], v[10:11], v[23:24]
	s_waitcnt lgkmcnt(1)
	v_mul_f64 v[23:24], v[43:44], v[23:24]
	s_waitcnt vmcnt(2)
	v_mul_f64 v[53:54], v[12:13], v[27:28]
	v_mul_f64 v[27:28], v[37:38], v[27:28]
	s_waitcnt vmcnt(1)
	v_mul_f64 v[55:56], v[14:15], v[31:32]
	;; [unrolled: 3-line block ×3, first 2 shown]
	v_mul_f64 v[35:36], v[41:42], v[35:36]
	v_fma_f64 v[16:17], v[43:44], v[21:22], -v[16:17]
	v_fma_f64 v[37:38], v[37:38], v[25:26], -v[53:54]
	v_fma_f64 v[12:13], v[12:13], v[25:26], v[27:28]
	v_fma_f64 v[25:26], v[39:40], v[29:30], -v[55:56]
	v_fma_f64 v[27:28], v[14:15], v[29:30], v[31:32]
	;; [unrolled: 2-line block ×3, first 2 shown]
	v_mad_u64_u32 v[10:11], null, s13, v70, v[62:63]
	v_mov_b32_e32 v11, v68
	v_add_nc_u32_e32 v49, 0xc00, v74
	v_fma_f64 v[8:9], v[8:9], v[33:34], v[35:36]
	v_lshrrev_b32_e32 v23, 8, v77
	v_lshlrev_b64 v[14:15], 4, v[59:60]
	v_mad_u64_u32 v[21:22], null, s13, v20, v[66:67]
	v_mov_b32_e32 v62, v10
	ds_load_2addr_b64 v[49:52], v49 offset0:32 offset1:240
	v_mad_u32_u24 v59, 0x340, v23, v19
	v_add_co_u32 v24, vcc_lo, s6, v14
	v_add_co_ci_u32_e32 v36, vcc_lo, s7, v15, vcc_lo
	s_delay_alu instid0(VALU_DEP_3)
	v_mad_u64_u32 v[41:42], null, s12, v59, 0
	v_add_nc_u32_e32 v74, 0x410, v70
	v_mov_b32_e32 v66, v21
	v_mad_u32_u24 v57, 0x340, v73, v18
	v_add_co_u32 v70, vcc_lo, v24, v63
	v_add_co_ci_u32_e32 v73, vcc_lo, v36, v64, vcc_lo
	s_delay_alu instid0(VALU_DEP_3)
	v_mad_u64_u32 v[39:40], null, s12, v57, 0
	s_waitcnt lgkmcnt(1)
	v_add_f64 v[14:15], v[45:46], -v[37:38]
	v_mad_u64_u32 v[33:34], null, s13, v69, v[11:12]
	v_add_f64 v[12:13], v[4:5], -v[12:13]
	s_waitcnt lgkmcnt(0)
	v_add_f64 v[22:23], v[49:50], -v[29:30]
	v_mov_b32_e32 v29, v42
	v_mad_u64_u32 v[71:72], null, s12, v74, 0
	v_add_f64 v[10:11], v[51:52], -v[16:17]
	v_add_f64 v[18:19], v[47:48], -v[25:26]
	;; [unrolled: 1-line block ×3, first 2 shown]
	v_lshlrev_b64 v[24:25], 4, v[61:62]
	v_lshlrev_b64 v[26:27], 4, v[65:66]
	v_mov_b32_e32 v68, v33
	v_mov_b32_e32 v20, v72
	s_delay_alu instid0(VALU_DEP_2) | instskip(NEXT) | instid1(VALU_DEP_2)
	v_lshlrev_b64 v[36:37], 4, v[67:68]
	v_mad_u64_u32 v[34:35], null, s13, v74, v[20:21]
	v_add_f64 v[20:21], v[0:1], -v[8:9]
	v_add_f64 v[8:9], v[2:3], -v[31:32]
	v_add_nc_u32_e32 v69, 0x340, v59
	s_delay_alu instid0(VALU_DEP_4) | instskip(NEXT) | instid1(VALU_DEP_2)
	v_dual_mov_b32 v72, v34 :: v_dual_add_nc_u32 v35, 0x340, v57
	v_mad_u64_u32 v[53:54], null, s12, v69, 0
	v_mov_b32_e32 v28, v40
	s_delay_alu instid0(VALU_DEP_3) | instskip(NEXT) | instid1(VALU_DEP_4)
	v_mad_u64_u32 v[43:44], null, s12, v35, 0
	v_lshlrev_b64 v[55:56], 4, v[71:72]
	s_delay_alu instid0(VALU_DEP_3) | instskip(NEXT) | instid1(VALU_DEP_3)
	v_mad_u64_u32 v[30:31], null, s13, v57, v[28:29]
	v_mov_b32_e32 v28, v44
	s_delay_alu instid0(VALU_DEP_2)
	v_mad_u64_u32 v[57:58], null, s13, v59, v[29:30]
	v_mov_b32_e32 v29, v54
	v_add_co_u32 v58, vcc_lo, v70, v24
	v_add_co_ci_u32_e32 v59, vcc_lo, v73, v25, vcc_lo
	v_add_co_u32 v60, vcc_lo, v70, v26
	v_add_co_ci_u32_e32 v61, vcc_lo, v73, v27, vcc_lo
	v_fma_f64 v[26:27], v[45:46], 2.0, -v[14:15]
	v_fma_f64 v[24:25], v[4:5], 2.0, -v[12:13]
	v_mad_u64_u32 v[62:63], null, s13, v35, v[28:29]
	v_mad_u64_u32 v[63:64], null, s13, v69, v[29:30]
	v_mov_b32_e32 v40, v30
	v_fma_f64 v[30:31], v[47:48], 2.0, -v[18:19]
	v_fma_f64 v[28:29], v[6:7], 2.0, -v[16:17]
	;; [unrolled: 1-line block ×6, first 2 shown]
	v_mov_b32_e32 v42, v57
	v_add_co_u32 v0, vcc_lo, v70, v36
	v_lshlrev_b64 v[2:3], 4, v[39:40]
	v_mov_b32_e32 v44, v62
	v_add_co_ci_u32_e32 v1, vcc_lo, v73, v37, vcc_lo
	v_add_co_u32 v36, vcc_lo, v70, v55
	v_lshlrev_b64 v[38:39], 4, v[41:42]
	v_mov_b32_e32 v54, v63
	v_add_co_ci_u32_e32 v37, vcc_lo, v73, v56, vcc_lo
	v_lshlrev_b64 v[40:41], 4, v[43:44]
	v_add_co_u32 v2, vcc_lo, v70, v2
	v_add_co_ci_u32_e32 v3, vcc_lo, v73, v3, vcc_lo
	v_lshlrev_b64 v[42:43], 4, v[53:54]
	v_add_co_u32 v38, vcc_lo, v70, v38
	v_add_co_ci_u32_e32 v39, vcc_lo, v73, v39, vcc_lo
	v_add_co_u32 v40, vcc_lo, v70, v40
	v_add_co_ci_u32_e32 v41, vcc_lo, v73, v41, vcc_lo
	;; [unrolled: 2-line block ×3, first 2 shown]
	s_clause 0x7
	global_store_b128 v[58:59], v[24:27], off
	global_store_b128 v[0:1], v[12:15], off
	;; [unrolled: 1-line block ×8, first 2 shown]
.LBB0_17:
	s_nop 0
	s_sendmsg sendmsg(MSG_DEALLOC_VGPRS)
	s_endpgm
	.section	.rodata,"a",@progbits
	.p2align	6, 0x0
	.amdhsa_kernel fft_rtc_back_len1664_factors_13_2_2_4_2_2_2_wgs_208_tpt_208_halfLds_dp_op_CI_CI_sbrr_dirReg
		.amdhsa_group_segment_fixed_size 0
		.amdhsa_private_segment_fixed_size 0
		.amdhsa_kernarg_size 104
		.amdhsa_user_sgpr_count 15
		.amdhsa_user_sgpr_dispatch_ptr 0
		.amdhsa_user_sgpr_queue_ptr 0
		.amdhsa_user_sgpr_kernarg_segment_ptr 1
		.amdhsa_user_sgpr_dispatch_id 0
		.amdhsa_user_sgpr_private_segment_size 0
		.amdhsa_wavefront_size32 1
		.amdhsa_uses_dynamic_stack 0
		.amdhsa_enable_private_segment 0
		.amdhsa_system_sgpr_workgroup_id_x 1
		.amdhsa_system_sgpr_workgroup_id_y 0
		.amdhsa_system_sgpr_workgroup_id_z 0
		.amdhsa_system_sgpr_workgroup_info 0
		.amdhsa_system_vgpr_workitem_id 0
		.amdhsa_next_free_vgpr 148
		.amdhsa_next_free_sgpr 48
		.amdhsa_reserve_vcc 1
		.amdhsa_float_round_mode_32 0
		.amdhsa_float_round_mode_16_64 0
		.amdhsa_float_denorm_mode_32 3
		.amdhsa_float_denorm_mode_16_64 3
		.amdhsa_dx10_clamp 1
		.amdhsa_ieee_mode 1
		.amdhsa_fp16_overflow 0
		.amdhsa_workgroup_processor_mode 1
		.amdhsa_memory_ordered 1
		.amdhsa_forward_progress 0
		.amdhsa_shared_vgpr_count 0
		.amdhsa_exception_fp_ieee_invalid_op 0
		.amdhsa_exception_fp_denorm_src 0
		.amdhsa_exception_fp_ieee_div_zero 0
		.amdhsa_exception_fp_ieee_overflow 0
		.amdhsa_exception_fp_ieee_underflow 0
		.amdhsa_exception_fp_ieee_inexact 0
		.amdhsa_exception_int_div_zero 0
	.end_amdhsa_kernel
	.text
.Lfunc_end0:
	.size	fft_rtc_back_len1664_factors_13_2_2_4_2_2_2_wgs_208_tpt_208_halfLds_dp_op_CI_CI_sbrr_dirReg, .Lfunc_end0-fft_rtc_back_len1664_factors_13_2_2_4_2_2_2_wgs_208_tpt_208_halfLds_dp_op_CI_CI_sbrr_dirReg
                                        ; -- End function
	.section	.AMDGPU.csdata,"",@progbits
; Kernel info:
; codeLenInByte = 11108
; NumSgprs: 50
; NumVgprs: 148
; ScratchSize: 0
; MemoryBound: 1
; FloatMode: 240
; IeeeMode: 1
; LDSByteSize: 0 bytes/workgroup (compile time only)
; SGPRBlocks: 6
; VGPRBlocks: 18
; NumSGPRsForWavesPerEU: 50
; NumVGPRsForWavesPerEU: 148
; Occupancy: 9
; WaveLimiterHint : 1
; COMPUTE_PGM_RSRC2:SCRATCH_EN: 0
; COMPUTE_PGM_RSRC2:USER_SGPR: 15
; COMPUTE_PGM_RSRC2:TRAP_HANDLER: 0
; COMPUTE_PGM_RSRC2:TGID_X_EN: 1
; COMPUTE_PGM_RSRC2:TGID_Y_EN: 0
; COMPUTE_PGM_RSRC2:TGID_Z_EN: 0
; COMPUTE_PGM_RSRC2:TIDIG_COMP_CNT: 0
	.text
	.p2alignl 7, 3214868480
	.fill 96, 4, 3214868480
	.type	__hip_cuid_a0d16dd80b4ffe4e,@object ; @__hip_cuid_a0d16dd80b4ffe4e
	.section	.bss,"aw",@nobits
	.globl	__hip_cuid_a0d16dd80b4ffe4e
__hip_cuid_a0d16dd80b4ffe4e:
	.byte	0                               ; 0x0
	.size	__hip_cuid_a0d16dd80b4ffe4e, 1

	.ident	"AMD clang version 19.0.0git (https://github.com/RadeonOpenCompute/llvm-project roc-6.4.0 25133 c7fe45cf4b819c5991fe208aaa96edf142730f1d)"
	.section	".note.GNU-stack","",@progbits
	.addrsig
	.addrsig_sym __hip_cuid_a0d16dd80b4ffe4e
	.amdgpu_metadata
---
amdhsa.kernels:
  - .args:
      - .actual_access:  read_only
        .address_space:  global
        .offset:         0
        .size:           8
        .value_kind:     global_buffer
      - .offset:         8
        .size:           8
        .value_kind:     by_value
      - .actual_access:  read_only
        .address_space:  global
        .offset:         16
        .size:           8
        .value_kind:     global_buffer
      - .actual_access:  read_only
        .address_space:  global
        .offset:         24
        .size:           8
        .value_kind:     global_buffer
      - .actual_access:  read_only
        .address_space:  global
        .offset:         32
        .size:           8
        .value_kind:     global_buffer
      - .offset:         40
        .size:           8
        .value_kind:     by_value
      - .actual_access:  read_only
        .address_space:  global
        .offset:         48
        .size:           8
        .value_kind:     global_buffer
      - .actual_access:  read_only
        .address_space:  global
        .offset:         56
        .size:           8
        .value_kind:     global_buffer
      - .offset:         64
        .size:           4
        .value_kind:     by_value
      - .actual_access:  read_only
        .address_space:  global
        .offset:         72
        .size:           8
        .value_kind:     global_buffer
      - .actual_access:  read_only
        .address_space:  global
        .offset:         80
        .size:           8
        .value_kind:     global_buffer
      - .actual_access:  read_only
        .address_space:  global
        .offset:         88
        .size:           8
        .value_kind:     global_buffer
      - .actual_access:  write_only
        .address_space:  global
        .offset:         96
        .size:           8
        .value_kind:     global_buffer
    .group_segment_fixed_size: 0
    .kernarg_segment_align: 8
    .kernarg_segment_size: 104
    .language:       OpenCL C
    .language_version:
      - 2
      - 0
    .max_flat_workgroup_size: 208
    .name:           fft_rtc_back_len1664_factors_13_2_2_4_2_2_2_wgs_208_tpt_208_halfLds_dp_op_CI_CI_sbrr_dirReg
    .private_segment_fixed_size: 0
    .sgpr_count:     50
    .sgpr_spill_count: 0
    .symbol:         fft_rtc_back_len1664_factors_13_2_2_4_2_2_2_wgs_208_tpt_208_halfLds_dp_op_CI_CI_sbrr_dirReg.kd
    .uniform_work_group_size: 1
    .uses_dynamic_stack: false
    .vgpr_count:     148
    .vgpr_spill_count: 0
    .wavefront_size: 32
    .workgroup_processor_mode: 1
amdhsa.target:   amdgcn-amd-amdhsa--gfx1100
amdhsa.version:
  - 1
  - 2
...

	.end_amdgpu_metadata
